;; amdgpu-corpus repo=ROCm/hip-tests kind=compiled arch=gfx1250 opt=O3
	.amdgcn_target "amdgcn-amd-amdhsa--gfx1250"
	.amdhsa_code_object_version 6
	.text
	.protected	_Z8test_gwsPjjPyS0_     ; -- Begin function _Z8test_gwsPjjPyS0_
	.globl	_Z8test_gwsPjjPyS0_
	.p2align	8
	.type	_Z8test_gwsPjjPyS0_,@function
_Z8test_gwsPjjPyS0_:                    ; @_Z8test_gwsPjjPyS0_
; %bb.0:
	s_clause 0x1
	s_load_b64 s[4:5], s[0:1], 0x2c
	s_load_b64 s[10:11], s[0:1], 0x20
	s_bfe_u32 s2, ttmp6, 0x40014
	s_bfe_u32 s3, ttmp6, 0x40010
	;; [unrolled: 1-line block ×3, first 2 shown]
	s_lshr_b32 s6, ttmp7, 16
	s_add_co_i32 s16, s2, 1
	s_and_b32 s8, ttmp7, 0xffff
	s_add_co_i32 s17, s3, 1
	s_add_co_i32 s15, s15, 1
	s_bfe_u32 s7, ttmp6, 0x40008
	s_mul_i32 s16, s6, s16
	s_bfe_u32 s9, ttmp6, 0x40004
	s_and_b32 s14, ttmp6, 15
	s_mul_i32 s17, s8, s17
	s_add_co_i32 s18, s7, s16
	s_getreg_b32 s7, hwreg(HW_REG_IB_STS2, 6, 4)
	s_add_co_i32 s9, s9, s17
	s_load_b64 s[2:3], s[0:1], 0x78
	v_bfe_u32 v10, v0, 20, 10
	s_wait_kmcnt 0x0
	s_and_b32 s20, s5, 0xffff
	s_mul_i32 s5, ttmp9, s15
	s_lshr_b32 s19, s4, 16
	s_add_co_i32 s14, s14, s5
	s_cmp_eq_u32 s7, 0
	s_mov_b32 s7, 0
	s_cselect_b32 s16, ttmp9, s14
	s_cselect_b32 s18, s6, s18
	s_cselect_b32 s17, s8, s9
	s_cmp_lt_u32 s16, s10
	s_mul_i32 s5, s11, s18
	s_cselect_b32 s8, 12, 18
	s_add_co_i32 s5, s5, s17
	s_add_nc_u64 s[12:13], s[0:1], 32
	s_mul_i32 s5, s5, s10
	s_mov_b32 s9, s7
	s_add_co_i32 s5, s5, s16
	s_add_nc_u64 s[8:9], s[12:13], s[8:9]
	v_mad_u32 v1, s5, s20, v10
	s_load_u16 s14, s[8:9], 0x0
	s_load_b32 s6, s[0:1], 0x8
	v_bfe_u32 v11, v0, 10, 10
	s_wait_xcnt 0x0
	s_load_b64 s[8:9], s[2:3], 0x8
	v_and_b32_e32 v12, 0x3ff, v0
	v_mov_b32_e32 v5, 0
	v_mov_b64_e32 v[2:3], 0
	s_mul_i32 s20, s20, s19
	s_mov_b32 s5, exec_lo
	v_mad_u32 v1, v1, s19, v11
	s_wait_kmcnt 0x0
	s_delay_alu instid0(VALU_DEP_1) | instskip(SKIP_1) | instid1(VALU_DEP_2)
	v_mad_u32 v0, v1, s14, v12
	v_mov_b32_e32 v1, v5
	v_cmpx_gt_u32_e64 s6, v0
	s_cbranch_execz .LBB0_4
; %bb.1:
	s_load_b32 s15, s[12:13], 0x8
	s_load_b64 s[22:23], s[0:1], 0x0
	s_wait_xcnt 0x0
	s_mul_i32 s12, s20, s10
	v_mov_b64_e32 v[2:3], 0
	s_mul_i32 s11, s12, s11
	v_mov_b64_e32 v[6:7], v[0:1]
	s_mov_b32 s13, s7
	s_wait_kmcnt 0x0
	s_mul_i32 s11, s11, s15
	v_lshl_add_u64 v[8:9], v[0:1], 2, s[22:23]
	s_mul_i32 s12, s11, s14
	s_mov_b32 s11, s7
	s_lshl_b64 s[14:15], s[12:13], 2
.LBB0_2:                                ; =>This Inner Loop Header: Depth=1
	global_load_b32 v4, v[8:9], off
	v_add_nc_u64_e32 v[6:7], s[12:13], v[6:7]
	s_wait_xcnt 0x0
	v_add_nc_u64_e32 v[8:9], s[14:15], v[8:9]
	s_delay_alu instid0(VALU_DEP_2)
	v_cmp_le_u64_e32 vcc_lo, s[6:7], v[6:7]
	s_or_b32 s11, vcc_lo, s11
	s_wait_loadcnt 0x0
	v_add_nc_u64_e32 v[2:3], v[2:3], v[4:5]
	s_and_not1_b32 exec_lo, exec_lo, s11
	s_cbranch_execnz .LBB0_2
; %bb.3:
	s_or_b32 exec_lo, exec_lo, s11
.LBB0_4:
	s_delay_alu instid0(SALU_CYCLE_1) | instskip(SKIP_4) | instid1(VALU_DEP_1)
	s_or_b32 exec_lo, exec_lo, s5
	v_mad_u32_u24 v4, v10, s19, v11
	s_and_b32 s12, s4, 0xffff
	s_load_b128 s[4:7], s[0:1], 0x10
	s_mov_b32 s11, exec_lo
	v_mad_u32 v4, v4, s12, v12
	s_delay_alu instid0(VALU_DEP_1)
	v_lshl_add_u32 v5, v4, 3, 0
	ds_store_b64 v5, v[2:3]
	s_wait_dscnt 0x0
	s_barrier_signal -1
	s_barrier_wait -1
	v_cmpx_eq_u32_e32 0, v4
	s_cbranch_execz .LBB0_15
; %bb.5:
	s_wait_xcnt 0x0
	s_mul_i32 s0, s20, s12
	s_delay_alu instid0(SALU_CYCLE_1)
	s_cmp_eq_u32 s0, 0
	s_cbranch_scc1 .LBB0_10
; %bb.6:
	v_mov_b64_e32 v[2:3], 0
	s_cmp_lt_u32 s0, 8
	s_mov_b32 s1, 0
	s_cbranch_scc1 .LBB0_11
; %bb.7:
	s_mov_b64 s[12:13], 0xfffffff8
	s_mov_b64 s[14:15], 0
	s_and_b64 s[12:13], s[0:1], s[12:13]
	s_mov_b32 s19, s1
.LBB0_8:                                ; =>This Inner Loop Header: Depth=1
	s_delay_alu instid0(SALU_CYCLE_1)
	v_mov_b32_e32 v8, s19
	s_add_nc_u64 s[14:15], s[14:15], 8
	s_add_co_i32 s19, s19, 64
	s_cmp_eq_u64 s[12:13], s[14:15]
	ds_load_2addr_b64 v[4:7], v8 offset1:1
	ds_load_2addr_b64 v[14:17], v8 offset0:2 offset1:3
	s_wait_dscnt 0x1
	v_add_nc_u64_e32 v[2:3], v[4:5], v[2:3]
	s_delay_alu instid0(VALU_DEP_1) | instskip(SKIP_3) | instid1(VALU_DEP_1)
	v_add_nc_u64_e32 v[6:7], v[6:7], v[2:3]
	ds_load_2addr_b64 v[2:5], v8 offset0:4 offset1:5
	s_wait_dscnt 0x1
	v_add_nc_u64_e32 v[6:7], v[14:15], v[6:7]
	v_add_nc_u64_e32 v[14:15], v[16:17], v[6:7]
	ds_load_2addr_b64 v[6:9], v8 offset0:6 offset1:7
	s_wait_dscnt 0x1
	v_add_nc_u64_e32 v[2:3], v[2:3], v[14:15]
	s_delay_alu instid0(VALU_DEP_1) | instskip(SKIP_1) | instid1(VALU_DEP_1)
	v_add_nc_u64_e32 v[2:3], v[4:5], v[2:3]
	s_wait_dscnt 0x0
	v_add_nc_u64_e32 v[2:3], v[6:7], v[2:3]
	s_delay_alu instid0(VALU_DEP_1)
	v_add_nc_u64_e32 v[2:3], v[8:9], v[2:3]
	s_cbranch_scc0 .LBB0_8
; %bb.9:
	s_and_b64 s[0:1], s[0:1], 7
	s_delay_alu instid0(SALU_CYCLE_1)
	s_cmp_eq_u64 s[0:1], 0
	s_cbranch_scc0 .LBB0_12
	s_branch .LBB0_14
.LBB0_10:
	v_mov_b64_e32 v[2:3], 0
	s_branch .LBB0_14
.LBB0_11:
	s_mov_b64 s[12:13], 0
	s_and_b64 s[0:1], s[0:1], 7
	s_delay_alu instid0(SALU_CYCLE_1)
	s_cmp_eq_u64 s[0:1], 0
	s_cbranch_scc1 .LBB0_14
.LBB0_12:
	s_lshl_b32 s12, s12, 3
	s_delay_alu instid0(SALU_CYCLE_1)
	s_add_co_i32 s12, s12, 0
.LBB0_13:                               ; =>This Inner Loop Header: Depth=1
	s_delay_alu instid0(SALU_CYCLE_1)
	v_mov_b32_e32 v4, s12
	s_add_nc_u64 s[0:1], s[0:1], -1
	s_add_co_i32 s12, s12, 8
	s_cmp_lg_u64 s[0:1], 0
	ds_load_b64 v[4:5], v4
	s_wait_dscnt 0x0
	v_add_nc_u64_e32 v[2:3], v[4:5], v[2:3]
	s_cbranch_scc1 .LBB0_13
.LBB0_14:
	v_mov_b32_e32 v4, s16
	s_wait_kmcnt 0x0
	global_store_b64 v4, v[2:3], s[4:5] scale_offset
.LBB0_15:
	s_wait_xcnt 0x0
	s_or_b32 exec_lo, exec_lo, s11
	v_or_b32_e32 v2, v12, v11
	s_wait_storecnt 0x0
	s_barrier_signal -1
	s_barrier_wait -1
	s_delay_alu instid0(VALU_DEP_1) | instskip(NEXT) | instid1(VALU_DEP_1)
	v_or_b32_e32 v3, v2, v10
	v_cmp_eq_u32_e32 vcc_lo, 0, v3
	s_and_saveexec_b32 s1, vcc_lo
	s_cbranch_execz .LBB0_25
; %bb.16:
	v_mov_b32_e32 v5, 0
	global_wb scope:SCOPE_DEV
	s_wait_storecnt 0x0
	s_mov_b32 s11, exec_lo
	s_mov_b32 s12, exec_lo
	global_load_b32 v3, v5, s[2:3] offset:40
	v_mbcnt_lo_u32_b32 v4, s11, 0
                                        ; implicit-def: $vgpr6
	s_wait_xcnt 0x0
	s_delay_alu instid0(VALU_DEP_1)
	v_cmpx_eq_u32_e32 0, v4
	s_cbranch_execz .LBB0_18
; %bb.17:
	s_bcnt1_i32_b32 s0, s11
	s_delay_alu instid0(SALU_CYCLE_1)
	v_mov_b32_e32 v6, s0
	global_atomic_add_u32 v6, v5, v6, s[2:3] offset:32 th:TH_ATOMIC_RETURN scope:SCOPE_DEV
.LBB0_18:
	s_wait_xcnt 0x0
	s_or_b32 exec_lo, exec_lo, s12
	s_wait_loadcnt 0x0
	v_readfirstlane_b32 s0, v6
	s_mov_b32 s11, exec_lo
	v_dual_add_nc_u32 v6, -1, v3 :: v_dual_add_nc_u32 v4, s0, v4
	s_delay_alu instid0(VALU_DEP_1) | instskip(NEXT) | instid1(VALU_DEP_1)
	v_and_b32_e32 v5, 0xffff, v4
	v_cmpx_eq_u32_e64 v5, v6
	s_cbranch_execz .LBB0_21
; %bb.19:
	s_mov_b32 s12, exec_lo
	s_delay_alu instid0(SALU_CYCLE_1) | instskip(NEXT) | instid1(VALU_DEP_1)
	v_mbcnt_lo_u32_b32 v5, s12, 0
	v_cmp_eq_u32_e64 s0, 0, v5
	s_and_b32 s0, exec_lo, s0
	s_delay_alu instid0(SALU_CYCLE_1)
	s_mov_b32 exec_lo, s0
	s_cbranch_execz .LBB0_21
; %bb.20:
	v_sub_nc_u32_e32 v3, 0x10000, v3
	s_bcnt1_i32_b32 s0, s12
	v_mov_b32_e32 v5, 0
	s_delay_alu instid0(VALU_DEP_2)
	v_mul_lo_u32 v3, v3, s0
	global_atomic_add_u32 v5, v3, s[2:3] offset:32 scope:SCOPE_DEV
.LBB0_21:
	s_wait_xcnt 0x0
	s_or_b32 exec_lo, exec_lo, s11
	v_mov_b32_e32 v3, 0
	v_and_b32_e32 v4, 0xffff0000, v4
	global_load_b32 v5, v3, s[2:3] offset:32 scope:SCOPE_DEV
	s_wait_loadcnt 0x0
	v_and_b32_e32 v5, 0xffff0000, v5
	s_delay_alu instid0(VALU_DEP_1)
	v_cmp_eq_u32_e64 s0, v5, v4
	s_wait_xcnt 0x0
	s_and_b32 exec_lo, exec_lo, s0
	s_cbranch_execz .LBB0_24
; %bb.22:
	s_mov_b32 s11, 0
.LBB0_23:                               ; =>This Inner Loop Header: Depth=1
	s_sleep 1
	global_load_b32 v5, v3, s[2:3] offset:32 scope:SCOPE_DEV
	s_wait_loadcnt 0x0
	v_and_b32_e32 v5, 0xffff0000, v5
	s_delay_alu instid0(VALU_DEP_1)
	v_cmp_ne_u32_e64 s0, v5, v4
	s_or_b32 s11, s0, s11
	s_wait_xcnt 0x0
	s_and_not1_b32 exec_lo, exec_lo, s11
	s_cbranch_execnz .LBB0_23
.LBB0_24:
	s_wait_storecnt 0x0
	global_inv scope:SCOPE_DEV
	s_wait_loadcnt 0x0
.LBB0_25:
	s_or_b32 exec_lo, exec_lo, s1
	s_delay_alu instid0(SALU_CYCLE_1)
	s_mov_b32 s1, exec_lo
	s_barrier_signal -1
	s_barrier_wait -1
	v_cmpx_gt_u32_e64 s10, v0
	s_cbranch_execz .LBB0_30
; %bb.26:
	s_wait_kmcnt 0x0
	v_lshl_add_u64 v[0:1], v[0:1], 3, s[4:5]
	s_mov_b32 s0, exec_lo
	s_mov_b64 s[4:5], 0
	global_load_b64 v[0:1], v[0:1], off
.LBB0_27:                               ; =>This Inner Loop Header: Depth=1
	s_ctz_i32_b32 s12, s0
	s_wait_loadcnt 0x0
	v_readlane_b32 s11, v1, s12
	v_readlane_b32 s10, v0, s12
	s_lshl_b32 s12, 1, s12
	s_delay_alu instid0(SALU_CYCLE_1) | instskip(NEXT) | instid1(SALU_CYCLE_1)
	s_and_not1_b32 s0, s0, s12
	s_cmp_lg_u32 s0, 0
	s_add_nc_u64 s[4:5], s[4:5], s[10:11]
	s_cbranch_scc1 .LBB0_27
; %bb.28:
	v_mbcnt_lo_u32_b32 v0, exec_lo, 0
	s_mov_b32 s10, exec_lo
	s_delay_alu instid0(VALU_DEP_1)
	v_cmpx_eq_u32_e32 0, v0
	s_xor_b32 s10, exec_lo, s10
	s_cbranch_execz .LBB0_30
; %bb.29:
	s_add_co_i32 s0, s8, 1
	v_mov_b64_e32 v[0:1], s[4:5]
	v_mov_b32_e32 v3, s0
	global_atomic_add_u64 v3, v[0:1], s[6:7] scale_offset scope:SCOPE_DEV
.LBB0_30:
	s_wait_xcnt 0x0
	s_or_b32 exec_lo, exec_lo, s1
	v_mov_b32_e32 v0, 0
	global_wb scope:SCOPE_SYS
	s_wait_storecnt 0x0
	global_inv scope:SCOPE_SYS
	s_barrier_signal -1
	s_barrier_wait -1
	global_load_b32 v0, v0, s[2:3] offset:40
	s_wait_loadcnt 0x0
	v_readfirstlane_b32 s1, v0
	s_wait_kmcnt 0x0
	s_and_saveexec_b32 s4, vcc_lo
	s_cbranch_execz .LBB0_39
; %bb.31:
	s_mov_b32 s10, exec_lo
	s_mov_b32 s5, exec_lo
	v_mbcnt_lo_u32_b32 v0, s10, 0
                                        ; implicit-def: $vgpr1
	s_delay_alu instid0(VALU_DEP_1)
	v_cmpx_eq_u32_e32 0, v0
	s_cbranch_execz .LBB0_33
; %bb.32:
	s_bcnt1_i32_b32 s0, s10
	s_delay_alu instid0(SALU_CYCLE_1)
	v_dual_mov_b32 v1, 0 :: v_dual_mov_b32 v3, s0
	global_atomic_add_u32 v1, v1, v3, s[2:3] offset:32 th:TH_ATOMIC_RETURN scope:SCOPE_DEV
.LBB0_33:
	s_wait_xcnt 0x0
	s_or_b32 exec_lo, exec_lo, s5
	s_wait_loadcnt 0x0
	v_readfirstlane_b32 s0, v1
	s_mov_b32 s5, exec_lo
	v_add_nc_u32_e32 v0, s0, v0
	s_add_co_i32 s0, s1, -1
	s_delay_alu instid0(VALU_DEP_1) | instskip(NEXT) | instid1(VALU_DEP_1)
	v_and_b32_e32 v1, 0xffff, v0
	v_cmpx_eq_u32_e64 s0, v1
	s_cbranch_execz .LBB0_36
; %bb.34:
	s_mov_b32 s10, exec_lo
	s_delay_alu instid0(SALU_CYCLE_1) | instskip(NEXT) | instid1(VALU_DEP_1)
	v_mbcnt_lo_u32_b32 v1, s10, 0
	v_cmp_eq_u32_e64 s0, 0, v1
	s_and_b32 s0, exec_lo, s0
	s_delay_alu instid0(SALU_CYCLE_1)
	s_mov_b32 exec_lo, s0
	s_cbranch_execz .LBB0_36
; %bb.35:
	s_sub_co_i32 s0, 0x10000, s1
	s_bcnt1_i32_b32 s10, s10
	s_delay_alu instid0(SALU_CYCLE_1) | instskip(NEXT) | instid1(SALU_CYCLE_1)
	s_mul_i32 s0, s0, s10
	v_dual_mov_b32 v1, 0 :: v_dual_mov_b32 v3, s0
	global_atomic_add_u32 v1, v3, s[2:3] offset:32 scope:SCOPE_DEV
.LBB0_36:
	s_wait_xcnt 0x0
	s_or_b32 exec_lo, exec_lo, s5
	v_mov_b32_e32 v1, 0
	v_and_b32_e32 v0, 0xffff0000, v0
	global_load_b32 v3, v1, s[2:3] offset:32 scope:SCOPE_DEV
	s_wait_loadcnt 0x0
	v_and_b32_e32 v3, 0xffff0000, v3
	s_delay_alu instid0(VALU_DEP_1)
	v_cmp_eq_u32_e64 s0, v3, v0
	s_wait_xcnt 0x0
	s_and_b32 exec_lo, exec_lo, s0
	s_cbranch_execz .LBB0_39
; %bb.37:
	s_mov_b32 s5, 0
.LBB0_38:                               ; =>This Inner Loop Header: Depth=1
	s_sleep 1
	global_load_b32 v3, v1, s[2:3] offset:32 scope:SCOPE_DEV
	s_wait_loadcnt 0x0
	v_and_b32_e32 v3, 0xffff0000, v3
	s_delay_alu instid0(VALU_DEP_1)
	v_cmp_ne_u32_e64 s0, v3, v0
	s_or_b32 s5, s0, s5
	s_wait_xcnt 0x0
	s_and_not1_b32 exec_lo, exec_lo, s5
	s_cbranch_execnz .LBB0_38
.LBB0_39:
	s_or_b32 exec_lo, exec_lo, s4
	v_or3_b32 v0, v2, s17, s16
	s_mov_b32 s4, exec_lo
	s_delay_alu instid0(VALU_DEP_1) | instskip(NEXT) | instid1(VALU_DEP_1)
	v_or3_b32 v0, v0, s18, v10
	v_cmpx_eq_u32_e32 0, v0
	s_cbranch_execz .LBB0_49
; %bb.40:
	v_mov_b32_e32 v3, 0
	s_mov_b32 s5, exec_lo
	s_mov_b32 s10, exec_lo
                                        ; implicit-def: $vgpr4
	s_clause 0x1
	global_load_b64 v[0:1], v3, s[2:3]
	global_load_b32 v2, v3, s[2:3] offset:12
	s_wait_xcnt 0x0
	v_mbcnt_lo_u32_b32 v3, s5, 0
	s_delay_alu instid0(VALU_DEP_1)
	v_cmpx_eq_u32_e32 0, v3
	s_cbranch_execz .LBB0_42
; %bb.41:
	s_bcnt1_i32_b32 s0, s5
	s_delay_alu instid0(SALU_CYCLE_1)
	v_mov_b32_e32 v4, s0
	s_wait_loadcnt 0x1
	global_atomic_add_u32 v4, v[0:1], v4, off th:TH_ATOMIC_RETURN scope:SCOPE_SYS
.LBB0_42:
	s_wait_xcnt 0x0
	s_or_b32 exec_lo, exec_lo, s10
	s_wait_loadcnt 0x0
	v_readfirstlane_b32 s0, v4
	s_mov_b32 s5, exec_lo
	v_dual_add_nc_u32 v5, -1, v2 :: v_dual_add_nc_u32 v3, s0, v3
	s_delay_alu instid0(VALU_DEP_1) | instskip(NEXT) | instid1(VALU_DEP_1)
	v_and_b32_e32 v4, 0xff, v3
	v_cmpx_ne_u32_e64 v4, v5
	s_xor_b32 s5, exec_lo, s5
	s_cbranch_execz .LBB0_46
; %bb.43:
	s_mov_b32 s10, 0
.LBB0_44:                               ; =>This Inner Loop Header: Depth=1
	s_sleep 2
	global_load_b32 v2, v[0:1], off scope:SCOPE_SYS
	s_wait_loadcnt 0x0
	v_xor_b32_e32 v2, v2, v3
	s_delay_alu instid0(VALU_DEP_1)
	v_cmp_lt_u32_e64 s0, 0xff, v2
	s_or_b32 s10, s0, s10
	s_wait_xcnt 0x0
	s_and_not1_b32 exec_lo, exec_lo, s10
	s_cbranch_execnz .LBB0_44
; %bb.45:
	s_or_b32 exec_lo, exec_lo, s10
                                        ; implicit-def: $vgpr2
                                        ; implicit-def: $vgpr0_vgpr1
.LBB0_46:
	s_and_not1_saveexec_b32 s0, s5
	s_cbranch_execz .LBB0_49
; %bb.47:
	s_mov_b32 s5, exec_lo
	s_delay_alu instid0(SALU_CYCLE_1) | instskip(NEXT) | instid1(VALU_DEP_1)
	v_mbcnt_lo_u32_b32 v3, s5, 0
	v_cmp_eq_u32_e64 s0, 0, v3
	s_and_b32 s0, exec_lo, s0
	s_delay_alu instid0(SALU_CYCLE_1)
	s_mov_b32 exec_lo, s0
	s_cbranch_execz .LBB0_49
; %bb.48:
	v_sub_nc_u32_e32 v2, 0x100, v2
	s_bcnt1_i32_b32 s0, s5
	s_delay_alu instid0(VALU_DEP_1) | instid1(SALU_CYCLE_1)
	v_mul_lo_u32 v2, v2, s0
	global_atomic_add_u32 v[0:1], v2, off scope:SCOPE_SYS
.LBB0_49:
	s_wait_xcnt 0x0
	s_or_b32 exec_lo, exec_lo, s4
	s_and_saveexec_b32 s0, vcc_lo
	s_cbranch_execz .LBB0_58
; %bb.50:
	s_mov_b32 s5, exec_lo
	s_mov_b32 s4, exec_lo
	v_mbcnt_lo_u32_b32 v0, s5, 0
                                        ; implicit-def: $vgpr1
	s_delay_alu instid0(VALU_DEP_1)
	v_cmpx_eq_u32_e32 0, v0
	s_cbranch_execz .LBB0_52
; %bb.51:
	s_bcnt1_i32_b32 s5, s5
	s_delay_alu instid0(SALU_CYCLE_1)
	v_dual_mov_b32 v1, 0 :: v_dual_mov_b32 v2, s5
	global_atomic_add_u32 v1, v1, v2, s[2:3] offset:32 th:TH_ATOMIC_RETURN scope:SCOPE_DEV
.LBB0_52:
	s_wait_xcnt 0x0
	s_or_b32 exec_lo, exec_lo, s4
	s_wait_loadcnt 0x0
	v_readfirstlane_b32 s4, v1
	s_delay_alu instid0(VALU_DEP_1) | instskip(SKIP_1) | instid1(VALU_DEP_1)
	v_add_nc_u32_e32 v0, s4, v0
	s_add_co_i32 s4, s1, -1
	v_and_b32_e32 v1, 0xffff, v0
	s_delay_alu instid0(VALU_DEP_1)
	v_cmp_eq_u32_e32 vcc_lo, s4, v1
	s_and_saveexec_b32 s4, vcc_lo
	s_cbranch_execz .LBB0_55
; %bb.53:
	s_mov_b32 s5, exec_lo
	s_delay_alu instid0(SALU_CYCLE_1) | instskip(NEXT) | instid1(VALU_DEP_1)
	v_mbcnt_lo_u32_b32 v1, s5, 0
	v_cmp_eq_u32_e32 vcc_lo, 0, v1
	s_and_b32 s10, exec_lo, vcc_lo
	s_delay_alu instid0(SALU_CYCLE_1)
	s_mov_b32 exec_lo, s10
	s_cbranch_execz .LBB0_55
; %bb.54:
	s_sub_co_i32 s1, 0x10000, s1
	s_bcnt1_i32_b32 s5, s5
	s_delay_alu instid0(SALU_CYCLE_1) | instskip(NEXT) | instid1(SALU_CYCLE_1)
	s_mul_i32 s1, s1, s5
	v_dual_mov_b32 v1, 0 :: v_dual_mov_b32 v2, s1
	global_atomic_add_u32 v1, v2, s[2:3] offset:32 scope:SCOPE_DEV
.LBB0_55:
	s_wait_xcnt 0x0
	s_or_b32 exec_lo, exec_lo, s4
	v_mov_b32_e32 v1, 0
	v_and_b32_e32 v0, 0xffff0000, v0
	global_load_b32 v2, v1, s[2:3] offset:32 scope:SCOPE_DEV
	s_wait_loadcnt 0x0
	v_and_b32_e32 v2, 0xffff0000, v2
	s_delay_alu instid0(VALU_DEP_1)
	v_cmp_eq_u32_e32 vcc_lo, v2, v0
	s_wait_xcnt 0x0
	s_and_b32 exec_lo, exec_lo, vcc_lo
	s_cbranch_execz .LBB0_58
; %bb.56:
	s_mov_b32 s1, 0
.LBB0_57:                               ; =>This Inner Loop Header: Depth=1
	s_sleep 1
	global_load_b32 v2, v1, s[2:3] offset:32 scope:SCOPE_DEV
	s_wait_loadcnt 0x0
	v_and_b32_e32 v2, 0xffff0000, v2
	s_delay_alu instid0(VALU_DEP_1)
	v_cmp_ne_u32_e32 vcc_lo, v2, v0
	s_or_b32 s1, vcc_lo, s1
	s_wait_xcnt 0x0
	s_and_not1_b32 exec_lo, exec_lo, s1
	s_cbranch_execnz .LBB0_57
.LBB0_58:
	s_or_b32 exec_lo, exec_lo, s0
	s_cmp_lg_u32 s8, 0
	s_barrier_signal -1
	s_barrier_wait -1
	s_cbranch_scc0 .LBB0_60
; %bb.59:
	s_endpgm
.LBB0_60:
	v_mov_b64_e32 v[0:1], 0
	s_cmp_eq_u32 s9, 0
	s_cbranch_scc1 .LBB0_63
; %bb.61:
	v_mov_b32_e32 v2, 0
	s_mov_b32 s1, 0
	s_mov_b32 s0, s9
	s_add_nc_u64 s[2:3], s[6:7], 8
.LBB0_62:                               ; =>This Inner Loop Header: Depth=1
	global_load_b64 v[4:5], v2, s[2:3]
	s_add_nc_u64 s[0:1], s[0:1], -1
	s_wait_xcnt 0x0
	s_add_nc_u64 s[2:3], s[2:3], 8
	s_cmp_eq_u64 s[0:1], 0
	s_wait_loadcnt 0x0
	v_add_nc_u64_e32 v[0:1], v[4:5], v[0:1]
	s_cbranch_scc0 .LBB0_62
.LBB0_63:
	v_mov_b32_e32 v2, 0
	global_store_b64 v2, v[0:1], s[6:7]
	s_endpgm
	.section	.rodata,"a",@progbits
	.p2align	6, 0x0
	.amdhsa_kernel _Z8test_gwsPjjPyS0_
		.amdhsa_group_segment_fixed_size 0
		.amdhsa_private_segment_fixed_size 0
		.amdhsa_kernarg_size 288
		.amdhsa_user_sgpr_count 2
		.amdhsa_user_sgpr_dispatch_ptr 0
		.amdhsa_user_sgpr_queue_ptr 0
		.amdhsa_user_sgpr_kernarg_segment_ptr 1
		.amdhsa_user_sgpr_dispatch_id 0
		.amdhsa_user_sgpr_kernarg_preload_length 0
		.amdhsa_user_sgpr_kernarg_preload_offset 0
		.amdhsa_user_sgpr_private_segment_size 0
		.amdhsa_wavefront_size32 1
		.amdhsa_uses_dynamic_stack 0
		.amdhsa_enable_private_segment 0
		.amdhsa_system_sgpr_workgroup_id_x 1
		.amdhsa_system_sgpr_workgroup_id_y 1
		.amdhsa_system_sgpr_workgroup_id_z 1
		.amdhsa_system_sgpr_workgroup_info 0
		.amdhsa_system_vgpr_workitem_id 2
		.amdhsa_next_free_vgpr 18
		.amdhsa_next_free_sgpr 24
		.amdhsa_named_barrier_count 0
		.amdhsa_reserve_vcc 1
		.amdhsa_float_round_mode_32 0
		.amdhsa_float_round_mode_16_64 0
		.amdhsa_float_denorm_mode_32 3
		.amdhsa_float_denorm_mode_16_64 3
		.amdhsa_fp16_overflow 0
		.amdhsa_memory_ordered 1
		.amdhsa_forward_progress 1
		.amdhsa_inst_pref_size 21
		.amdhsa_round_robin_scheduling 0
		.amdhsa_exception_fp_ieee_invalid_op 0
		.amdhsa_exception_fp_denorm_src 0
		.amdhsa_exception_fp_ieee_div_zero 0
		.amdhsa_exception_fp_ieee_overflow 0
		.amdhsa_exception_fp_ieee_underflow 0
		.amdhsa_exception_fp_ieee_inexact 0
		.amdhsa_exception_int_div_zero 0
	.end_amdhsa_kernel
	.text
.Lfunc_end0:
	.size	_Z8test_gwsPjjPyS0_, .Lfunc_end0-_Z8test_gwsPjjPyS0_
                                        ; -- End function
	.set _Z8test_gwsPjjPyS0_.num_vgpr, 18
	.set _Z8test_gwsPjjPyS0_.num_agpr, 0
	.set _Z8test_gwsPjjPyS0_.numbered_sgpr, 24
	.set _Z8test_gwsPjjPyS0_.num_named_barrier, 0
	.set _Z8test_gwsPjjPyS0_.private_seg_size, 0
	.set _Z8test_gwsPjjPyS0_.uses_vcc, 1
	.set _Z8test_gwsPjjPyS0_.uses_flat_scratch, 0
	.set _Z8test_gwsPjjPyS0_.has_dyn_sized_stack, 0
	.set _Z8test_gwsPjjPyS0_.has_recursion, 0
	.set _Z8test_gwsPjjPyS0_.has_indirect_call, 0
	.section	.AMDGPU.csdata,"",@progbits
; Kernel info:
; codeLenInByte = 2564
; TotalNumSgprs: 26
; NumVgprs: 18
; ScratchSize: 0
; MemoryBound: 0
; FloatMode: 240
; IeeeMode: 1
; LDSByteSize: 0 bytes/workgroup (compile time only)
; SGPRBlocks: 0
; VGPRBlocks: 1
; NumSGPRsForWavesPerEU: 26
; NumVGPRsForWavesPerEU: 18
; NamedBarCnt: 0
; Occupancy: 16
; WaveLimiterHint : 1
; COMPUTE_PGM_RSRC2:SCRATCH_EN: 0
; COMPUTE_PGM_RSRC2:USER_SGPR: 2
; COMPUTE_PGM_RSRC2:TRAP_HANDLER: 0
; COMPUTE_PGM_RSRC2:TGID_X_EN: 1
; COMPUTE_PGM_RSRC2:TGID_Y_EN: 1
; COMPUTE_PGM_RSRC2:TGID_Z_EN: 1
; COMPUTE_PGM_RSRC2:TIDIG_COMP_CNT: 2
	.text
	.p2alignl 7, 3214868480
	.fill 96, 4, 3214868480
	.section	.AMDGPU.gpr_maximums,"",@progbits
	.set amdgpu.max_num_vgpr, 0
	.set amdgpu.max_num_agpr, 0
	.set amdgpu.max_num_sgpr, 0
	.text
	.type	__hip_cuid_e921e19451734841,@object ; @__hip_cuid_e921e19451734841
	.section	.bss,"aw",@nobits
	.globl	__hip_cuid_e921e19451734841
__hip_cuid_e921e19451734841:
	.byte	0                               ; 0x0
	.size	__hip_cuid_e921e19451734841, 1

	.ident	"AMD clang version 22.0.0git (https://github.com/RadeonOpenCompute/llvm-project roc-7.2.4 26084 f58b06dce1f9c15707c5f808fd002e18c2accf7e)"
	.section	".note.GNU-stack","",@progbits
	.addrsig
	.addrsig_sym __hip_cuid_e921e19451734841
	.amdgpu_metadata
---
amdhsa.kernels:
  - .args:
      - .address_space:  global
        .offset:         0
        .size:           8
        .value_kind:     global_buffer
      - .offset:         8
        .size:           4
        .value_kind:     by_value
      - .address_space:  global
        .offset:         16
        .size:           8
        .value_kind:     global_buffer
      - .address_space:  global
        .offset:         24
        .size:           8
        .value_kind:     global_buffer
      - .offset:         32
        .size:           4
        .value_kind:     hidden_block_count_x
      - .offset:         36
        .size:           4
        .value_kind:     hidden_block_count_y
      - .offset:         40
        .size:           4
        .value_kind:     hidden_block_count_z
      - .offset:         44
        .size:           2
        .value_kind:     hidden_group_size_x
      - .offset:         46
        .size:           2
        .value_kind:     hidden_group_size_y
      - .offset:         48
        .size:           2
        .value_kind:     hidden_group_size_z
      - .offset:         50
        .size:           2
        .value_kind:     hidden_remainder_x
      - .offset:         52
        .size:           2
        .value_kind:     hidden_remainder_y
      - .offset:         54
        .size:           2
        .value_kind:     hidden_remainder_z
      - .offset:         72
        .size:           8
        .value_kind:     hidden_global_offset_x
      - .offset:         80
        .size:           8
        .value_kind:     hidden_global_offset_y
      - .offset:         88
        .size:           8
        .value_kind:     hidden_global_offset_z
      - .offset:         96
        .size:           2
        .value_kind:     hidden_grid_dims
      - .offset:         120
        .size:           8
        .value_kind:     hidden_multigrid_sync_arg
      - .offset:         152
        .size:           4
        .value_kind:     hidden_dynamic_lds_size
    .group_segment_fixed_size: 0
    .kernarg_segment_align: 8
    .kernarg_segment_size: 288
    .language:       OpenCL C
    .language_version:
      - 2
      - 0
    .max_flat_workgroup_size: 1024
    .name:           _Z8test_gwsPjjPyS0_
    .private_segment_fixed_size: 0
    .sgpr_count:     26
    .sgpr_spill_count: 0
    .symbol:         _Z8test_gwsPjjPyS0_.kd
    .uniform_work_group_size: 1
    .uses_dynamic_stack: false
    .vgpr_count:     18
    .vgpr_spill_count: 0
    .wavefront_size: 32
amdhsa.target:   amdgcn-amd-amdhsa--gfx1250
amdhsa.version:
  - 1
  - 2
...

	.end_amdgpu_metadata
